;; amdgpu-corpus repo=ROCm/rocFFT kind=compiled arch=gfx1201 opt=O3
	.text
	.amdgcn_target "amdgcn-amd-amdhsa--gfx1201"
	.amdhsa_code_object_version 6
	.protected	bluestein_single_back_len675_dim1_sp_op_CI_CI ; -- Begin function bluestein_single_back_len675_dim1_sp_op_CI_CI
	.globl	bluestein_single_back_len675_dim1_sp_op_CI_CI
	.p2align	8
	.type	bluestein_single_back_len675_dim1_sp_op_CI_CI,@function
bluestein_single_back_len675_dim1_sp_op_CI_CI: ; @bluestein_single_back_len675_dim1_sp_op_CI_CI
; %bb.0:
	s_load_b128 s[4:7], s[0:1], 0x28
	v_mul_u32_u24_e32 v1, 0x124, v0
	s_mov_b32 s2, exec_lo
	v_mov_b32_e32 v37, 0
	s_delay_alu instid0(VALU_DEP_2) | instskip(NEXT) | instid1(VALU_DEP_1)
	v_lshrrev_b32_e32 v1, 16, v1
	v_add_nc_u32_e32 v36, ttmp9, v1
	s_wait_kmcnt 0x0
	s_delay_alu instid0(VALU_DEP_1)
	v_cmpx_gt_u64_e64 s[4:5], v[36:37]
	s_cbranch_execz .LBB0_23
; %bb.1:
	s_clause 0x1
	s_load_b64 s[8:9], s[0:1], 0x0
	s_load_b64 s[4:5], s[0:1], 0x38
	v_mul_lo_u16 v1, 0xe1, v1
	s_delay_alu instid0(VALU_DEP_1) | instskip(NEXT) | instid1(VALU_DEP_1)
	v_sub_nc_u16 v0, v0, v1
	v_and_b32_e32 v39, 0xffff, v0
	v_cmp_gt_u16_e32 vcc_lo, 0x87, v0
	s_delay_alu instid0(VALU_DEP_2)
	v_lshlrev_b32_e32 v40, 3, v39
	s_and_saveexec_b32 s3, vcc_lo
	s_cbranch_execz .LBB0_3
; %bb.2:
	s_load_b64 s[10:11], s[0:1], 0x18
	s_delay_alu instid0(VALU_DEP_1)
	v_add_nc_u32_e32 v22, 0x800, v40
	s_wait_kmcnt 0x0
	s_load_b128 s[12:15], s[10:11], 0x0
	s_wait_kmcnt 0x0
	v_mad_co_u64_u32 v[0:1], null, s14, v36, 0
	v_mad_co_u64_u32 v[2:3], null, s12, v39, 0
	s_delay_alu instid0(VALU_DEP_1) | instskip(NEXT) | instid1(VALU_DEP_1)
	v_mad_co_u64_u32 v[4:5], null, s15, v36, v[1:2]
	v_mad_co_u64_u32 v[5:6], null, s13, v39, v[3:4]
	v_mov_b32_e32 v1, v4
	s_delay_alu instid0(VALU_DEP_1) | instskip(NEXT) | instid1(VALU_DEP_3)
	v_lshlrev_b64_e32 v[0:1], 3, v[0:1]
	v_mov_b32_e32 v3, v5
	s_clause 0x2
	global_load_b64 v[4:5], v40, s[8:9]
	global_load_b64 v[6:7], v40, s[8:9] offset:1080
	global_load_b64 v[8:9], v40, s[8:9] offset:2160
	v_add_co_u32 v0, s2, s6, v0
	v_lshlrev_b64_e32 v[2:3], 3, v[2:3]
	v_add_co_ci_u32_e64 v1, s2, s7, v1, s2
	s_mul_u64 s[6:7], s[12:13], 0x438
	s_delay_alu instid0(VALU_DEP_2) | instskip(SKIP_1) | instid1(VALU_DEP_2)
	v_add_co_u32 v0, s2, v0, v2
	s_wait_alu 0xf1ff
	v_add_co_ci_u32_e64 v1, s2, v1, v3, s2
	s_wait_alu 0xfffe
	s_delay_alu instid0(VALU_DEP_2) | instskip(SKIP_1) | instid1(VALU_DEP_2)
	v_add_co_u32 v2, s2, v0, s6
	s_wait_alu 0xf1ff
	v_add_co_ci_u32_e64 v3, s2, s7, v1, s2
	s_delay_alu instid0(VALU_DEP_2) | instskip(SKIP_1) | instid1(VALU_DEP_2)
	v_add_co_u32 v10, s2, v2, s6
	s_wait_alu 0xf1ff
	v_add_co_ci_u32_e64 v11, s2, s7, v3, s2
	s_clause 0x1
	global_load_b64 v[0:1], v[0:1], off
	global_load_b64 v[2:3], v[2:3], off
	v_add_co_u32 v12, s2, v10, s6
	s_wait_alu 0xf1ff
	v_add_co_ci_u32_e64 v13, s2, s7, v11, s2
	global_load_b64 v[10:11], v[10:11], off
	v_add_co_u32 v14, s2, v12, s6
	s_wait_alu 0xf1ff
	v_add_co_ci_u32_e64 v15, s2, s7, v13, s2
	global_load_b64 v[16:17], v40, s[8:9] offset:3240
	global_load_b64 v[12:13], v[12:13], off
	global_load_b64 v[18:19], v40, s[8:9] offset:4320
	global_load_b64 v[14:15], v[14:15], off
	s_wait_loadcnt 0x6
	v_mul_f32_e32 v20, v1, v5
	v_mul_f32_e32 v21, v0, v5
	s_wait_loadcnt 0x5
	v_mul_f32_e32 v5, v3, v7
	s_delay_alu instid0(VALU_DEP_3) | instskip(SKIP_1) | instid1(VALU_DEP_2)
	v_dual_mul_f32 v7, v2, v7 :: v_dual_fmac_f32 v20, v0, v4
	s_wait_loadcnt 0x4
	v_dual_mul_f32 v0, v11, v9 :: v_dual_fmac_f32 v5, v2, v6
	s_delay_alu instid0(VALU_DEP_2) | instskip(SKIP_2) | instid1(VALU_DEP_3)
	v_fma_f32 v6, v3, v6, -v7
	s_wait_loadcnt 0x2
	v_mul_f32_e32 v2, v13, v17
	v_dual_mul_f32 v3, v12, v17 :: v_dual_fmac_f32 v0, v10, v8
	v_fma_f32 v21, v1, v4, -v21
	s_wait_loadcnt 0x0
	v_mul_f32_e32 v4, v14, v19
	v_dual_mul_f32 v1, v10, v9 :: v_dual_fmac_f32 v2, v12, v16
	v_mul_f32_e32 v7, v15, v19
	v_fma_f32 v3, v13, v16, -v3
	s_delay_alu instid0(VALU_DEP_3) | instskip(SKIP_1) | instid1(VALU_DEP_4)
	v_fma_f32 v1, v11, v8, -v1
	v_fma_f32 v8, v15, v18, -v4
	v_fmac_f32_e32 v7, v14, v18
	ds_store_2addr_b64 v40, v[20:21], v[5:6] offset1:135
	ds_store_2addr_b64 v22, v[0:1], v[2:3] offset0:14 offset1:149
	ds_store_b64 v40, v[7:8] offset:4320
.LBB0_3:
	s_or_b32 exec_lo, exec_lo, s3
	global_wb scope:SCOPE_SE
	s_wait_dscnt 0x0
	s_wait_kmcnt 0x0
	s_barrier_signal -1
	s_barrier_wait -1
	global_inv scope:SCOPE_SE
                                        ; implicit-def: $vgpr12
                                        ; implicit-def: $vgpr0
                                        ; implicit-def: $vgpr4
	s_and_saveexec_b32 s2, vcc_lo
	s_cbranch_execz .LBB0_5
; %bb.4:
	v_add_nc_u32_e32 v0, 0x800, v40
	ds_load_2addr_b64 v[12:15], v40 offset1:135
	ds_load_2addr_b64 v[0:3], v0 offset0:14 offset1:149
	ds_load_b64 v[4:5], v40 offset:4320
.LBB0_5:
	s_wait_alu 0xfffe
	s_or_b32 exec_lo, exec_lo, s2
	s_wait_dscnt 0x0
	v_dual_add_f32 v6, v0, v2 :: v_dual_sub_f32 v9, v15, v5
	v_add_f32_e32 v7, v12, v14
	v_dual_sub_f32 v11, v1, v3 :: v_dual_sub_f32 v8, v4, v2
	s_delay_alu instid0(VALU_DEP_3) | instskip(SKIP_1) | instid1(VALU_DEP_4)
	v_fma_f32 v20, -0.5, v6, v12
	v_sub_f32_e32 v6, v14, v0
	v_add_f32_e32 v7, v7, v0
	s_load_b64 s[6:7], s[0:1], 0x8
	v_mul_lo_u16 v35, v39, 5
	v_fmamk_f32 v10, v9, 0x3f737871, v20
	s_delay_alu instid0(VALU_DEP_3) | instskip(SKIP_2) | instid1(VALU_DEP_4)
	v_dual_add_f32 v16, v14, v4 :: v_dual_add_f32 v7, v7, v2
	v_fmac_f32_e32 v20, 0xbf737871, v9
	v_add_f32_e32 v6, v6, v8
	v_dual_fmac_f32 v10, 0x3f167918, v11 :: v_dual_sub_f32 v17, v2, v4
	s_delay_alu instid0(VALU_DEP_4)
	v_fmac_f32_e32 v12, -0.5, v16
	v_dual_add_f32 v8, v7, v4 :: v_dual_sub_f32 v7, v0, v14
	v_fmac_f32_e32 v20, 0xbf167918, v11
	v_sub_f32_e32 v0, v0, v2
	v_sub_f32_e32 v4, v14, v4
	v_fmamk_f32 v16, v11, 0xbf737871, v12
	v_fmac_f32_e32 v12, 0x3f737871, v11
	v_dual_add_f32 v11, v13, v15 :: v_dual_fmac_f32 v10, 0x3e9e377a, v6
	global_wb scope:SCOPE_SE
	v_fmac_f32_e32 v16, 0x3f167918, v9
	v_fmac_f32_e32 v12, 0xbf167918, v9
	v_dual_add_f32 v9, v15, v5 :: v_dual_fmac_f32 v20, 0x3e9e377a, v6
	v_add_f32_e32 v6, v1, v3
	s_wait_kmcnt 0x0
	s_barrier_signal -1
	s_barrier_wait -1
	global_inv scope:SCOPE_SE
	v_fma_f32 v21, -0.5, v6, v13
	v_fmac_f32_e32 v13, -0.5, v9
	v_add_f32_e32 v6, v7, v17
	v_add_f32_e32 v7, v11, v1
	s_delay_alu instid0(VALU_DEP_1)
	v_add_f32_e32 v2, v7, v3
	v_sub_f32_e32 v7, v5, v3
	v_sub_f32_e32 v3, v3, v5
	v_fmamk_f32 v17, v0, 0x3f737871, v13
	v_fmamk_f32 v11, v4, 0xbf737871, v21
	v_fmac_f32_e32 v21, 0x3f737871, v4
	v_fmac_f32_e32 v13, 0xbf737871, v0
	s_delay_alu instid0(VALU_DEP_4) | instskip(SKIP_1) | instid1(VALU_DEP_4)
	v_fmac_f32_e32 v17, 0xbf167918, v4
	v_fmac_f32_e32 v12, 0x3e9e377a, v6
	;; [unrolled: 1-line block ×3, first 2 shown]
	s_delay_alu instid0(VALU_DEP_4) | instskip(SKIP_2) | instid1(VALU_DEP_1)
	v_fmac_f32_e32 v13, 0x3f167918, v4
	v_dual_fmac_f32 v16, 0x3e9e377a, v6 :: v_dual_add_f32 v9, v2, v5
	v_dual_sub_f32 v6, v15, v1 :: v_dual_sub_f32 v1, v1, v15
	v_dual_fmac_f32 v11, 0xbf167918, v0 :: v_dual_add_f32 v0, v1, v3
	s_delay_alu instid0(VALU_DEP_1) | instskip(NEXT) | instid1(VALU_DEP_1)
	v_dual_fmac_f32 v13, 0x3e9e377a, v0 :: v_dual_add_f32 v6, v6, v7
	v_fmac_f32_e32 v11, 0x3e9e377a, v6
	v_fmac_f32_e32 v21, 0x3e9e377a, v6
	v_fmac_f32_e32 v17, 0x3e9e377a, v0
	s_and_saveexec_b32 s2, vcc_lo
	s_cbranch_execz .LBB0_7
; %bb.6:
	v_dual_mov_b32 v0, v12 :: v_dual_and_b32 v1, 0xffff, v35
	s_delay_alu instid0(VALU_DEP_1)
	v_dual_mov_b32 v1, v13 :: v_dual_lshlrev_b32 v2, 3, v1
	ds_store_2addr_b64 v2, v[8:9], v[10:11] offset1:1
	ds_store_2addr_b64 v2, v[16:17], v[0:1] offset0:2 offset1:3
	ds_store_b64 v2, v[20:21] offset:32
.LBB0_7:
	s_wait_alu 0xfffe
	s_or_b32 exec_lo, exec_lo, s2
	s_load_b64 s[0:1], s[0:1], 0x20
	global_wb scope:SCOPE_SE
	s_wait_dscnt 0x0
	s_wait_kmcnt 0x0
	s_barrier_signal -1
	s_barrier_wait -1
	global_inv scope:SCOPE_SE
	s_and_saveexec_b32 s2, vcc_lo
	s_cbranch_execz .LBB0_9
; %bb.8:
	v_add_nc_u32_e32 v0, 0x800, v40
	ds_load_2addr_b64 v[16:19], v0 offset0:14 offset1:149
	ds_load_2addr_b64 v[8:11], v40 offset1:135
	ds_load_b64 v[20:21], v40 offset:4320
	s_wait_dscnt 0x2
	v_dual_mov_b32 v13, v19 :: v_dual_mov_b32 v12, v18
.LBB0_9:
	s_wait_alu 0xfffe
	s_or_b32 exec_lo, exec_lo, s2
	v_and_b32_e32 v14, 0xff, v39
	s_delay_alu instid0(VALU_DEP_1) | instskip(NEXT) | instid1(VALU_DEP_1)
	v_mul_lo_u16 v0, 0xcd, v14
	v_lshrrev_b16 v37, 10, v0
	s_delay_alu instid0(VALU_DEP_1) | instskip(NEXT) | instid1(VALU_DEP_1)
	v_mul_lo_u16 v0, v37, 5
	v_sub_nc_u16 v0, v39, v0
	s_delay_alu instid0(VALU_DEP_1) | instskip(NEXT) | instid1(VALU_DEP_1)
	v_and_b32_e32 v41, 0xff, v0
	v_lshlrev_b32_e32 v0, 5, v41
	s_clause 0x1
	global_load_b128 v[4:7], v0, s[6:7]
	global_load_b128 v[0:3], v0, s[6:7] offset:16
	global_wb scope:SCOPE_SE
	s_wait_loadcnt_dscnt 0x0
	s_barrier_signal -1
	s_barrier_wait -1
	global_inv scope:SCOPE_SE
	v_dual_mul_f32 v23, v17, v7 :: v_dual_mul_f32 v22, v11, v5
	v_dual_mul_f32 v24, v10, v5 :: v_dual_mul_f32 v15, v20, v3
	;; [unrolled: 1-line block ×4, first 2 shown]
	s_delay_alu instid0(VALU_DEP_4) | instskip(NEXT) | instid1(VALU_DEP_4)
	v_fma_f32 v16, v16, v6, -v23
	v_fmac_f32_e32 v15, v21, v2
	s_delay_alu instid0(VALU_DEP_4) | instskip(NEXT) | instid1(VALU_DEP_4)
	v_fmac_f32_e32 v18, v17, v6
	v_fmac_f32_e32 v19, v13, v0
	;; [unrolled: 1-line block ×3, first 2 shown]
	v_fma_f32 v11, v12, v0, -v25
	v_fma_f32 v12, v10, v4, -v22
	;; [unrolled: 1-line block ×3, first 2 shown]
	s_delay_alu instid0(VALU_DEP_3) | instskip(SKIP_2) | instid1(VALU_DEP_4)
	v_add_f32_e32 v20, v16, v11
	v_sub_f32_e32 v17, v18, v19
	v_sub_f32_e32 v13, v24, v15
	v_dual_sub_f32 v22, v12, v16 :: v_dual_sub_f32 v23, v10, v11
	v_dual_add_f32 v27, v12, v10 :: v_dual_add_f32 v30, v18, v19
	v_dual_sub_f32 v28, v16, v12 :: v_dual_sub_f32 v29, v11, v10
	v_dual_sub_f32 v26, v12, v10 :: v_dual_sub_f32 v33, v15, v19
	;; [unrolled: 1-line block ×3, first 2 shown]
	v_add_f32_e32 v34, v24, v15
	v_dual_sub_f32 v25, v16, v11 :: v_dual_sub_f32 v38, v18, v24
	v_fma_f32 v21, -0.5, v20, v8
	v_dual_add_f32 v32, v22, v23 :: v_dual_add_f32 v29, v28, v29
	v_fma_f32 v20, -0.5, v27, v8
	v_fma_f32 v28, -0.5, v30, v9
	v_add_f32_e32 v27, v31, v33
	v_fma_f32 v30, -0.5, v34, v9
	v_fmamk_f32 v33, v13, 0xbf737871, v21
	v_dual_fmamk_f32 v22, v17, 0x3f737871, v20 :: v_dual_add_f32 v31, v38, v42
	v_fmamk_f32 v34, v26, 0x3f737871, v28
	s_delay_alu instid0(VALU_DEP_4) | instskip(NEXT) | instid1(VALU_DEP_4)
	v_fmamk_f32 v23, v25, 0xbf737871, v30
	v_fmac_f32_e32 v33, 0xbf167918, v17
	s_delay_alu instid0(VALU_DEP_4) | instskip(SKIP_1) | instid1(VALU_DEP_4)
	v_fmac_f32_e32 v22, 0xbf167918, v13
	v_and_b32_e32 v42, 0xffff, v37
	v_dual_fmac_f32 v34, 0x3f167918, v25 :: v_dual_fmac_f32 v23, 0x3f167918, v26
	s_delay_alu instid0(VALU_DEP_3) | instskip(NEXT) | instid1(VALU_DEP_2)
	v_dual_fmac_f32 v33, 0x3e9e377a, v32 :: v_dual_fmac_f32 v22, 0x3e9e377a, v29
	v_fmac_f32_e32 v34, 0x3e9e377a, v27
	s_delay_alu instid0(VALU_DEP_3)
	v_fmac_f32_e32 v23, 0x3e9e377a, v31
	s_and_saveexec_b32 s2, vcc_lo
	s_cbranch_execz .LBB0_11
; %bb.10:
	v_dual_mul_f32 v37, 0x3f737871, v13 :: v_dual_mul_f32 v44, 0x3f737871, v26
	v_mul_f32_e32 v43, 0x3f737871, v25
	v_dual_mul_f32 v13, 0x3f167918, v13 :: v_dual_mul_f32 v26, 0x3f167918, v26
	s_delay_alu instid0(VALU_DEP_3) | instskip(NEXT) | instid1(VALU_DEP_3)
	v_dual_mul_f32 v25, 0x3f167918, v25 :: v_dual_sub_f32 v28, v28, v44
	v_dual_add_f32 v30, v43, v30 :: v_dual_mul_f32 v31, 0x3e9e377a, v31
	v_dual_mul_f32 v27, 0x3e9e377a, v27 :: v_dual_add_f32 v8, v8, v12
	v_add_f32_e32 v24, v9, v24
	s_delay_alu instid0(VALU_DEP_3) | instskip(SKIP_2) | instid1(VALU_DEP_4)
	v_sub_f32_e32 v26, v30, v26
	v_mul_f32_e32 v38, 0x3f167918, v17
	v_mul_f32_e32 v17, 0x3f737871, v17
	v_dual_add_f32 v21, v21, v37 :: v_dual_add_f32 v18, v24, v18
	v_add_f32_e32 v8, v8, v16
	v_dual_mul_f32 v32, 0x3e9e377a, v32 :: v_dual_mul_f32 v29, 0x3e9e377a, v29
	s_delay_alu instid0(VALU_DEP_4) | instskip(NEXT) | instid1(VALU_DEP_4)
	v_sub_f32_e32 v16, v20, v17
	v_dual_sub_f32 v12, v28, v25 :: v_dual_add_f32 v17, v18, v19
	v_dual_add_f32 v9, v31, v26 :: v_dual_add_f32 v18, v38, v21
	s_delay_alu instid0(VALU_DEP_3) | instskip(SKIP_1) | instid1(VALU_DEP_3)
	v_dual_add_f32 v13, v13, v16 :: v_dual_add_f32 v8, v8, v11
	v_mul_u32_u24_e32 v19, 25, v42
	v_dual_add_f32 v12, v27, v12 :: v_dual_add_f32 v11, v32, v18
	s_delay_alu instid0(VALU_DEP_3) | instskip(NEXT) | instid1(VALU_DEP_3)
	v_dual_add_f32 v16, v17, v15 :: v_dual_add_f32 v15, v8, v10
	v_add_lshl_u32 v10, v19, v41, 3
	v_add_f32_e32 v8, v29, v13
	ds_store_2addr_b64 v10, v[15:16], v[11:12] offset1:5
	ds_store_2addr_b64 v10, v[8:9], v[22:23] offset0:10 offset1:15
	ds_store_b64 v10, v[33:34] offset:160
.LBB0_11:
	s_wait_alu 0xfffe
	s_or_b32 exec_lo, exec_lo, s2
	v_mul_lo_u16 v8, v14, 41
	s_load_b128 s[0:3], s[0:1], 0x0
	global_wb scope:SCOPE_SE
	s_wait_dscnt 0x0
	s_wait_kmcnt 0x0
	s_barrier_signal -1
	s_barrier_wait -1
	v_lshrrev_b16 v18, 10, v8
	global_inv scope:SCOPE_SE
	v_mul_lo_u16 v20, 0xdb, v14
	v_mul_lo_u16 v8, v18, 25
	s_delay_alu instid0(VALU_DEP_2) | instskip(NEXT) | instid1(VALU_DEP_2)
	v_lshrrev_b16 v24, 14, v20
	v_sub_nc_u16 v8, v39, v8
	s_delay_alu instid0(VALU_DEP_2) | instskip(NEXT) | instid1(VALU_DEP_2)
	v_mul_lo_u16 v20, 0x4b, v24
	v_and_b32_e32 v19, 0xff, v8
	s_delay_alu instid0(VALU_DEP_2) | instskip(NEXT) | instid1(VALU_DEP_2)
	v_sub_nc_u16 v20, v39, v20
	v_lshlrev_b32_e32 v8, 4, v19
	global_load_b128 v[8:11], v8, s[6:7] offset:160
	ds_load_2addr_b64 v[12:15], v40 offset1:225
	ds_load_b64 v[16:17], v40 offset:3600
	v_and_b32_e32 v18, 0xffff, v18
	v_and_b32_e32 v25, 0xff, v20
	global_wb scope:SCOPE_SE
	s_wait_loadcnt_dscnt 0x0
	s_barrier_signal -1
	s_barrier_wait -1
	global_inv scope:SCOPE_SE
	v_mul_f32_e32 v26, v14, v9
	v_dual_mul_f32 v20, v15, v9 :: v_dual_mul_f32 v21, v17, v11
	v_mul_f32_e32 v27, v16, v11
	v_mul_u32_u24_e32 v18, 0x4b, v18
	s_delay_alu instid0(VALU_DEP_4) | instskip(NEXT) | instid1(VALU_DEP_4)
	v_fmac_f32_e32 v26, v15, v8
	v_fma_f32 v14, v14, v8, -v20
	v_fma_f32 v16, v16, v10, -v21
	v_fmac_f32_e32 v27, v17, v10
	v_add_lshl_u32 v43, v18, v19, 3
	s_delay_alu instid0(VALU_DEP_4) | instskip(NEXT) | instid1(VALU_DEP_4)
	v_dual_add_f32 v17, v12, v14 :: v_dual_lshlrev_b32 v18, 4, v25
	v_add_f32_e32 v15, v14, v16
	s_delay_alu instid0(VALU_DEP_4) | instskip(SKIP_2) | instid1(VALU_DEP_4)
	v_sub_f32_e32 v20, v26, v27
	v_add_f32_e32 v19, v26, v27
	v_dual_add_f32 v21, v13, v26 :: v_dual_sub_f32 v26, v14, v16
	v_fma_f32 v12, -0.5, v15, v12
	v_add_f32_e32 v14, v17, v16
	s_delay_alu instid0(VALU_DEP_4) | instskip(NEXT) | instid1(VALU_DEP_3)
	v_fma_f32 v13, -0.5, v19, v13
	v_dual_add_f32 v15, v21, v27 :: v_dual_fmamk_f32 v16, v20, 0x3f5db3d7, v12
	s_delay_alu instid0(VALU_DEP_2)
	v_dual_fmac_f32 v12, 0xbf5db3d7, v20 :: v_dual_fmamk_f32 v17, v26, 0xbf5db3d7, v13
	v_dual_fmac_f32 v13, 0x3f5db3d7, v26 :: v_dual_lshlrev_b32 v26, 4, v39
	ds_store_2addr_b64 v43, v[14:15], v[16:17] offset1:25
	ds_store_b64 v43, v[12:13] offset:400
	global_wb scope:SCOPE_SE
	s_wait_dscnt 0x0
	s_barrier_signal -1
	s_barrier_wait -1
	global_inv scope:SCOPE_SE
	global_load_b128 v[12:15], v18, s[6:7] offset:560
	ds_load_2addr_b64 v[16:19], v40 offset1:225
	ds_load_b64 v[20:21], v40 offset:3600
	v_and_b32_e32 v24, 0xffff, v24
	global_wb scope:SCOPE_SE
	s_wait_loadcnt_dscnt 0x0
	s_barrier_signal -1
	s_barrier_wait -1
	global_inv scope:SCOPE_SE
	v_dual_mul_f32 v27, v19, v13 :: v_dual_mul_f32 v28, v21, v15
	v_dual_mul_f32 v29, v18, v13 :: v_dual_mul_f32 v30, v20, v15
	v_mul_u32_u24_e32 v24, 0xe1, v24
	s_delay_alu instid0(VALU_DEP_3) | instskip(NEXT) | instid1(VALU_DEP_4)
	v_fma_f32 v18, v18, v12, -v27
	v_fma_f32 v20, v20, v14, -v28
	s_delay_alu instid0(VALU_DEP_4) | instskip(NEXT) | instid1(VALU_DEP_4)
	v_dual_fmac_f32 v29, v19, v12 :: v_dual_fmac_f32 v30, v21, v14
	v_add_lshl_u32 v44, v24, v25, 3
	s_delay_alu instid0(VALU_DEP_3) | instskip(NEXT) | instid1(VALU_DEP_3)
	v_dual_add_f32 v21, v16, v18 :: v_dual_sub_f32 v28, v18, v20
	v_dual_add_f32 v19, v18, v20 :: v_dual_add_f32 v24, v29, v30
	v_sub_f32_e32 v25, v29, v30
	v_add_f32_e32 v27, v17, v29
	s_delay_alu instid0(VALU_DEP_4) | instskip(NEXT) | instid1(VALU_DEP_4)
	v_add_f32_e32 v18, v21, v20
	v_fma_f32 v16, -0.5, v19, v16
	v_fma_f32 v17, -0.5, v24, v17
	s_delay_alu instid0(VALU_DEP_2) | instskip(NEXT) | instid1(VALU_DEP_2)
	v_dual_add_f32 v19, v27, v30 :: v_dual_fmamk_f32 v20, v25, 0x3f5db3d7, v16
	v_fmamk_f32 v21, v28, 0xbf5db3d7, v17
	v_fmac_f32_e32 v17, 0x3f5db3d7, v28
	v_fmac_f32_e32 v16, 0xbf5db3d7, v25
	ds_store_2addr_b64 v44, v[18:19], v[20:21] offset1:75
	ds_store_b64 v44, v[16:17] offset:1200
	global_wb scope:SCOPE_SE
	s_wait_dscnt 0x0
	s_barrier_signal -1
	s_barrier_wait -1
	global_inv scope:SCOPE_SE
	global_load_b128 v[16:19], v26, s[6:7] offset:1760
	ds_load_2addr_b64 v[24:27], v40 offset1:225
	ds_load_b64 v[20:21], v40 offset:3600
	s_wait_loadcnt_dscnt 0x0
	v_dual_mul_f32 v29, v21, v19 :: v_dual_mul_f32 v28, v27, v17
	v_dual_mul_f32 v30, v26, v17 :: v_dual_mul_f32 v31, v20, v19
	s_delay_alu instid0(VALU_DEP_2) | instskip(NEXT) | instid1(VALU_DEP_3)
	v_fma_f32 v26, v26, v16, -v28
	v_fma_f32 v28, v20, v18, -v29
	s_delay_alu instid0(VALU_DEP_3) | instskip(NEXT) | instid1(VALU_DEP_2)
	v_dual_fmac_f32 v30, v27, v16 :: v_dual_fmac_f32 v31, v21, v18
	v_dual_add_f32 v27, v24, v26 :: v_dual_sub_f32 v32, v26, v28
	v_add_f32_e32 v20, v26, v28
	s_delay_alu instid0(VALU_DEP_3) | instskip(SKIP_1) | instid1(VALU_DEP_3)
	v_add_f32_e32 v21, v30, v31
	v_dual_sub_f32 v29, v30, v31 :: v_dual_add_f32 v30, v25, v30
	v_fma_f32 v20, -0.5, v20, v24
	v_add_f32_e32 v24, v27, v28
	s_delay_alu instid0(VALU_DEP_4) | instskip(NEXT) | instid1(VALU_DEP_3)
	v_fma_f32 v21, -0.5, v21, v25
	v_dual_add_f32 v25, v30, v31 :: v_dual_fmamk_f32 v26, v29, 0x3f5db3d7, v20
	s_delay_alu instid0(VALU_DEP_2)
	v_dual_fmac_f32 v20, 0xbf5db3d7, v29 :: v_dual_fmamk_f32 v27, v32, 0xbf5db3d7, v21
	v_fmac_f32_e32 v21, 0x3f5db3d7, v32
	ds_store_2addr_b64 v40, v[24:25], v[26:27] offset1:225
	ds_store_b64 v40, v[20:21] offset:3600
	global_wb scope:SCOPE_SE
	s_wait_dscnt 0x0
	s_barrier_signal -1
	s_barrier_wait -1
	global_inv scope:SCOPE_SE
	s_and_saveexec_b32 s6, vcc_lo
	s_cbranch_execz .LBB0_13
; %bb.12:
	global_load_b64 v[28:29], v40, s[8:9] offset:5400
	s_add_nc_u64 s[10:11], s[8:9], 0x1518
	s_clause 0x3
	global_load_b64 v[37:38], v40, s[10:11] offset:1080
	global_load_b64 v[49:50], v40, s[10:11] offset:2160
	;; [unrolled: 1-line block ×4, first 2 shown]
	ds_load_b64 v[30:31], v40
	v_add_nc_u32_e32 v56, 0x400, v40
	s_wait_loadcnt_dscnt 0x400
	v_dual_mul_f32 v32, v31, v29 :: v_dual_add_nc_u32 v57, 0xc00, v40
	v_mul_f32_e32 v46, v30, v29
	s_delay_alu instid0(VALU_DEP_2) | instskip(NEXT) | instid1(VALU_DEP_2)
	v_fma_f32 v45, v30, v28, -v32
	v_fmac_f32_e32 v46, v31, v28
	ds_store_b64 v40, v[45:46]
	ds_load_2addr_b64 v[28:31], v56 offset0:7 offset1:142
	ds_load_2addr_b64 v[45:48], v57 offset0:21 offset1:156
	s_wait_loadcnt_dscnt 0x301
	v_mul_f32_e32 v58, v29, v38
	v_mul_f32_e32 v55, v28, v38
	s_wait_loadcnt 0x2
	v_mul_f32_e32 v59, v31, v50
	v_mul_f32_e32 v38, v30, v50
	s_wait_loadcnt_dscnt 0x100
	v_mul_f32_e32 v60, v46, v52
	v_mul_f32_e32 v32, v45, v52
	s_wait_loadcnt 0x0
	v_dual_fmac_f32 v55, v29, v37 :: v_dual_mul_f32 v52, v48, v54
	v_mul_f32_e32 v50, v47, v54
	v_fma_f32 v54, v28, v37, -v58
	v_fma_f32 v37, v30, v49, -v59
	v_fmac_f32_e32 v38, v31, v49
	v_fma_f32 v31, v45, v51, -v60
	v_fmac_f32_e32 v32, v46, v51
	;; [unrolled: 2-line block ×3, first 2 shown]
	ds_store_2addr_b64 v56, v[54:55], v[37:38] offset0:7 offset1:142
	ds_store_2addr_b64 v57, v[31:32], v[49:50] offset0:21 offset1:156
.LBB0_13:
	s_wait_alu 0xfffe
	s_or_b32 exec_lo, exec_lo, s6
	global_wb scope:SCOPE_SE
	s_wait_dscnt 0x0
	s_barrier_signal -1
	s_barrier_wait -1
	global_inv scope:SCOPE_SE
	s_and_saveexec_b32 s6, vcc_lo
	s_cbranch_execz .LBB0_15
; %bb.14:
	v_add_nc_u32_e32 v20, 0x800, v40
	ds_load_2addr_b64 v[24:27], v40 offset1:135
	ds_load_2addr_b64 v[20:23], v20 offset0:14 offset1:149
	ds_load_b64 v[33:34], v40 offset:4320
.LBB0_15:
	s_wait_alu 0xfffe
	s_or_b32 exec_lo, exec_lo, s6
	s_wait_dscnt 0x0
	v_dual_add_f32 v28, v20, v22 :: v_dual_add_f32 v45, v26, v33
	v_dual_add_f32 v29, v24, v26 :: v_dual_sub_f32 v38, v21, v23
	v_sub_f32_e32 v31, v27, v34
	s_delay_alu instid0(VALU_DEP_3) | instskip(SKIP_3) | instid1(VALU_DEP_4)
	v_fma_f32 v37, -0.5, v28, v24
	v_sub_f32_e32 v28, v26, v20
	v_sub_f32_e32 v32, v33, v22
	v_dual_add_f32 v29, v29, v20 :: v_dual_fmac_f32 v24, -0.5, v45
	v_fmamk_f32 v30, v31, 0xbf737871, v37
	s_delay_alu instid0(VALU_DEP_3)
	v_dual_fmac_f32 v37, 0x3f737871, v31 :: v_dual_add_f32 v46, v28, v32
	global_wb scope:SCOPE_SE
	s_barrier_signal -1
	v_dual_fmac_f32 v30, 0xbf167918, v38 :: v_dual_add_f32 v47, v25, v27
	v_add_f32_e32 v28, v29, v22
	v_fmac_f32_e32 v37, 0x3f167918, v38
	v_dual_add_f32 v29, v21, v23 :: v_dual_fmamk_f32 v32, v38, 0x3f737871, v24
	v_sub_f32_e32 v45, v20, v26
	s_delay_alu instid0(VALU_DEP_3)
	v_dual_add_f32 v28, v28, v33 :: v_dual_fmac_f32 v37, 0x3e9e377a, v46
	v_fmac_f32_e32 v30, 0x3e9e377a, v46
	v_sub_f32_e32 v46, v22, v33
	v_fmac_f32_e32 v24, 0xbf737871, v38
	v_fma_f32 v38, -0.5, v29, v25
	v_sub_f32_e32 v26, v26, v33
	s_delay_alu instid0(VALU_DEP_4)
	v_dual_fmac_f32 v32, 0xbf167918, v31 :: v_dual_add_f32 v29, v45, v46
	v_add_f32_e32 v45, v27, v34
	v_dual_add_f32 v33, v47, v21 :: v_dual_sub_f32 v20, v20, v22
	s_barrier_wait -1
	global_inv scope:SCOPE_SE
	v_fmac_f32_e32 v25, -0.5, v45
	v_sub_f32_e32 v45, v34, v23
	v_fmac_f32_e32 v24, 0x3f167918, v31
	v_dual_fmamk_f32 v31, v26, 0x3f737871, v38 :: v_dual_add_f32 v22, v33, v23
	s_delay_alu instid0(VALU_DEP_4) | instskip(SKIP_1) | instid1(VALU_DEP_3)
	v_dual_fmac_f32 v38, 0xbf737871, v26 :: v_dual_fmamk_f32 v33, v20, 0xbf737871, v25
	v_dual_sub_f32 v23, v23, v34 :: v_dual_fmac_f32 v32, 0x3e9e377a, v29
	v_fmac_f32_e32 v31, 0x3f167918, v20
	v_fmac_f32_e32 v24, 0x3e9e377a, v29
	v_sub_f32_e32 v29, v27, v21
	v_sub_f32_e32 v21, v21, v27
	v_fmac_f32_e32 v25, 0x3f737871, v20
	v_fmac_f32_e32 v38, 0xbf167918, v20
	;; [unrolled: 1-line block ×3, first 2 shown]
	v_add_f32_e32 v27, v29, v45
	s_delay_alu instid0(VALU_DEP_4) | instskip(SKIP_1) | instid1(VALU_DEP_3)
	v_dual_add_f32 v20, v21, v23 :: v_dual_fmac_f32 v25, 0xbf167918, v26
	v_add_f32_e32 v29, v22, v34
	v_fmac_f32_e32 v31, 0x3e9e377a, v27
	s_delay_alu instid0(VALU_DEP_3) | instskip(NEXT) | instid1(VALU_DEP_4)
	v_dual_fmac_f32 v38, 0x3e9e377a, v27 :: v_dual_fmac_f32 v33, 0x3e9e377a, v20
	v_fmac_f32_e32 v25, 0x3e9e377a, v20
	s_and_saveexec_b32 s6, vcc_lo
	s_cbranch_execz .LBB0_17
; %bb.16:
	v_dual_mov_b32 v20, v24 :: v_dual_and_b32 v21, 0xffff, v35
	s_delay_alu instid0(VALU_DEP_1)
	v_dual_mov_b32 v21, v25 :: v_dual_lshlrev_b32 v22, 3, v21
	ds_store_2addr_b64 v22, v[28:29], v[30:31] offset1:1
	ds_store_2addr_b64 v22, v[32:33], v[20:21] offset0:2 offset1:3
	ds_store_b64 v22, v[37:38] offset:32
.LBB0_17:
	s_wait_alu 0xfffe
	s_or_b32 exec_lo, exec_lo, s6
	global_wb scope:SCOPE_SE
	s_wait_dscnt 0x0
	s_barrier_signal -1
	s_barrier_wait -1
	global_inv scope:SCOPE_SE
	s_and_saveexec_b32 s6, vcc_lo
	s_cbranch_execz .LBB0_19
; %bb.18:
	v_add_nc_u32_e32 v20, 0x800, v40
	ds_load_2addr_b64 v[32:35], v20 offset0:14 offset1:149
	ds_load_2addr_b64 v[28:31], v40 offset1:135
	ds_load_b64 v[37:38], v40 offset:4320
	s_wait_dscnt 0x2
	v_dual_mov_b32 v25, v35 :: v_dual_mov_b32 v24, v34
.LBB0_19:
	s_wait_alu 0xfffe
	s_or_b32 exec_lo, exec_lo, s6
	global_wb scope:SCOPE_SE
	s_wait_dscnt 0x0
	s_barrier_signal -1
	s_barrier_wait -1
	global_inv scope:SCOPE_SE
	s_and_saveexec_b32 s6, vcc_lo
	s_cbranch_execz .LBB0_21
; %bb.20:
	v_dual_mul_f32 v20, v5, v30 :: v_dual_mul_f32 v21, v3, v37
	v_mul_f32_e32 v26, v1, v25
	v_mul_f32_e32 v23, v7, v33
	;; [unrolled: 1-line block ×4, first 2 shown]
	v_fma_f32 v20, v4, v31, -v20
	v_fma_f32 v21, v2, v38, -v21
	v_mul_f32_e32 v1, v1, v24
	v_fmac_f32_e32 v26, v0, v24
	v_dual_mul_f32 v24, v5, v31 :: v_dual_fmac_f32 v23, v6, v32
	v_fmac_f32_e32 v27, v2, v37
	v_fma_f32 v22, v6, v33, -v22
	v_add_f32_e32 v6, v20, v21
	v_fma_f32 v25, v0, v25, -v1
	v_sub_f32_e32 v0, v23, v26
	s_delay_alu instid0(VALU_DEP_3) | instskip(NEXT) | instid1(VALU_DEP_3)
	v_fma_f32 v1, -0.5, v6, v29
	v_dual_add_f32 v5, v22, v25 :: v_dual_fmac_f32 v24, v4, v30
	s_delay_alu instid0(VALU_DEP_2) | instskip(NEXT) | instid1(VALU_DEP_2)
	v_dual_sub_f32 v2, v22, v20 :: v_dual_fmamk_f32 v3, v0, 0x3f737871, v1
	v_dual_fmac_f32 v1, 0xbf737871, v0 :: v_dual_sub_f32 v6, v24, v27
	v_sub_f32_e32 v4, v25, v21
	s_delay_alu instid0(VALU_DEP_4) | instskip(NEXT) | instid1(VALU_DEP_2)
	v_fma_f32 v5, -0.5, v5, v29
	v_dual_fmac_f32 v3, 0xbf167918, v6 :: v_dual_add_f32 v2, v2, v4
	s_delay_alu instid0(VALU_DEP_1) | instskip(SKIP_1) | instid1(VALU_DEP_4)
	v_fmac_f32_e32 v3, 0x3e9e377a, v2
	v_fmac_f32_e32 v1, 0x3f167918, v6
	v_dual_sub_f32 v4, v20, v22 :: v_dual_fmamk_f32 v7, v6, 0xbf737871, v5
	v_dual_sub_f32 v30, v21, v25 :: v_dual_fmac_f32 v5, 0x3f737871, v6
	s_delay_alu instid0(VALU_DEP_3) | instskip(NEXT) | instid1(VALU_DEP_3)
	v_fmac_f32_e32 v1, 0x3e9e377a, v2
	v_fmac_f32_e32 v7, 0xbf167918, v0
	s_delay_alu instid0(VALU_DEP_3) | instskip(SKIP_2) | instid1(VALU_DEP_3)
	v_dual_add_f32 v29, v29, v20 :: v_dual_add_f32 v4, v4, v30
	v_add_f32_e32 v30, v23, v26
	v_sub_f32_e32 v20, v20, v21
	v_dual_add_f32 v6, v29, v22 :: v_dual_add_f32 v29, v24, v27
	s_delay_alu instid0(VALU_DEP_4) | instskip(NEXT) | instid1(VALU_DEP_2)
	v_dual_sub_f32 v22, v22, v25 :: v_dual_fmac_f32 v7, 0x3e9e377a, v4
	v_dual_add_f32 v6, v6, v25 :: v_dual_fmac_f32 v5, 0x3f167918, v0
	s_delay_alu instid0(VALU_DEP_3) | instskip(SKIP_1) | instid1(VALU_DEP_3)
	v_fma_f32 v0, -0.5, v29, v28
	v_sub_f32_e32 v25, v23, v24
	v_add_f32_e32 v21, v6, v21
	s_delay_alu instid0(VALU_DEP_4) | instskip(NEXT) | instid1(VALU_DEP_4)
	v_fmac_f32_e32 v5, 0x3e9e377a, v4
	v_fmamk_f32 v2, v22, 0xbf737871, v0
	v_sub_f32_e32 v29, v26, v27
	v_fma_f32 v4, -0.5, v30, v28
	v_add_f32_e32 v28, v28, v24
	v_sub_f32_e32 v24, v24, v23
	s_delay_alu instid0(VALU_DEP_4) | instskip(NEXT) | instid1(VALU_DEP_4)
	v_dual_fmac_f32 v2, 0x3f167918, v20 :: v_dual_add_f32 v25, v25, v29
	v_dual_fmamk_f32 v6, v20, 0x3f737871, v4 :: v_dual_sub_f32 v29, v27, v26
	s_delay_alu instid0(VALU_DEP_4) | instskip(NEXT) | instid1(VALU_DEP_3)
	v_dual_fmac_f32 v4, 0xbf737871, v20 :: v_dual_add_f32 v23, v28, v23
	v_fmac_f32_e32 v2, 0x3e9e377a, v25
	v_fmac_f32_e32 v0, 0x3f737871, v22
	s_delay_alu instid0(VALU_DEP_4) | instskip(NEXT) | instid1(VALU_DEP_4)
	v_add_f32_e32 v24, v24, v29
	v_fmac_f32_e32 v4, 0xbf167918, v22
	v_add_f32_e32 v23, v23, v26
	v_mul_u32_u24_e32 v26, 25, v42
	v_fmac_f32_e32 v0, 0xbf167918, v20
	v_fmac_f32_e32 v6, 0x3f167918, v22
	;; [unrolled: 1-line block ×3, first 2 shown]
	v_add_f32_e32 v20, v23, v27
	v_add_lshl_u32 v22, v26, v41, 3
	v_fmac_f32_e32 v0, 0x3e9e377a, v25
	v_fmac_f32_e32 v6, 0x3e9e377a, v24
	ds_store_2addr_b64 v22, v[20:21], v[4:5] offset1:5
	ds_store_2addr_b64 v22, v[0:1], v[2:3] offset0:10 offset1:15
	ds_store_b64 v22, v[6:7] offset:160
.LBB0_21:
	s_wait_alu 0xfffe
	s_or_b32 exec_lo, exec_lo, s6
	global_wb scope:SCOPE_SE
	s_wait_dscnt 0x0
	s_barrier_signal -1
	s_barrier_wait -1
	global_inv scope:SCOPE_SE
	ds_load_2addr_b64 v[0:3], v40 offset1:225
	ds_load_b64 v[4:5], v40 offset:3600
	global_wb scope:SCOPE_SE
	s_wait_dscnt 0x0
	s_barrier_signal -1
	s_barrier_wait -1
	global_inv scope:SCOPE_SE
	v_dual_mul_f32 v6, v9, v3 :: v_dual_mul_f32 v7, v11, v5
	s_delay_alu instid0(VALU_DEP_1) | instskip(NEXT) | instid1(VALU_DEP_2)
	v_dual_mul_f32 v11, v11, v4 :: v_dual_fmac_f32 v6, v8, v2
	v_fmac_f32_e32 v7, v10, v4
	s_delay_alu instid0(VALU_DEP_1) | instskip(NEXT) | instid1(VALU_DEP_1)
	v_dual_mul_f32 v9, v9, v2 :: v_dual_add_f32 v4, v6, v7
	v_fma_f32 v2, v8, v3, -v9
	s_delay_alu instid0(VALU_DEP_4) | instskip(SKIP_1) | instid1(VALU_DEP_4)
	v_fma_f32 v3, v10, v5, -v11
	v_add_f32_e32 v5, v0, v6
	v_fma_f32 v0, -0.5, v4, v0
	s_delay_alu instid0(VALU_DEP_4) | instskip(NEXT) | instid1(VALU_DEP_4)
	v_add_f32_e32 v10, v1, v2
	v_add_f32_e32 v8, v2, v3
	v_sub_f32_e32 v9, v2, v3
	v_sub_f32_e32 v6, v6, v7
	s_delay_alu instid0(VALU_DEP_4) | instskip(NEXT) | instid1(VALU_DEP_4)
	v_add_f32_e32 v3, v10, v3
	v_fma_f32 v1, -0.5, v8, v1
	s_delay_alu instid0(VALU_DEP_4) | instskip(SKIP_1) | instid1(VALU_DEP_3)
	v_fmamk_f32 v4, v9, 0xbf5db3d7, v0
	v_add_f32_e32 v2, v5, v7
	v_dual_fmac_f32 v0, 0x3f5db3d7, v9 :: v_dual_fmamk_f32 v5, v6, 0x3f5db3d7, v1
	v_fmac_f32_e32 v1, 0xbf5db3d7, v6
	ds_store_2addr_b64 v43, v[2:3], v[4:5] offset1:25
	ds_store_b64 v43, v[0:1] offset:400
	global_wb scope:SCOPE_SE
	s_wait_dscnt 0x0
	s_barrier_signal -1
	s_barrier_wait -1
	global_inv scope:SCOPE_SE
	ds_load_2addr_b64 v[0:3], v40 offset1:225
	ds_load_b64 v[4:5], v40 offset:3600
	global_wb scope:SCOPE_SE
	s_wait_dscnt 0x0
	s_barrier_signal -1
	s_barrier_wait -1
	global_inv scope:SCOPE_SE
	v_dual_mul_f32 v6, v13, v3 :: v_dual_mul_f32 v7, v15, v5
	v_dual_mul_f32 v8, v13, v2 :: v_dual_mul_f32 v9, v15, v4
	s_delay_alu instid0(VALU_DEP_2) | instskip(NEXT) | instid1(VALU_DEP_2)
	v_dual_fmac_f32 v6, v12, v2 :: v_dual_fmac_f32 v7, v14, v4
	v_fma_f32 v2, v12, v3, -v8
	s_delay_alu instid0(VALU_DEP_3) | instskip(NEXT) | instid1(VALU_DEP_3)
	v_fma_f32 v3, v14, v5, -v9
	v_dual_add_f32 v5, v0, v6 :: v_dual_add_f32 v4, v6, v7
	v_sub_f32_e32 v6, v6, v7
	s_delay_alu instid0(VALU_DEP_3) | instskip(SKIP_1) | instid1(VALU_DEP_4)
	v_add_f32_e32 v8, v2, v3
	v_dual_sub_f32 v9, v2, v3 :: v_dual_add_f32 v10, v1, v2
	v_fma_f32 v0, -0.5, v4, v0
	s_delay_alu instid0(VALU_DEP_3) | instskip(SKIP_1) | instid1(VALU_DEP_3)
	v_fma_f32 v1, -0.5, v8, v1
	v_add_f32_e32 v2, v5, v7
	v_dual_add_f32 v3, v10, v3 :: v_dual_fmamk_f32 v4, v9, 0xbf5db3d7, v0
	s_delay_alu instid0(VALU_DEP_3)
	v_dual_fmac_f32 v0, 0x3f5db3d7, v9 :: v_dual_fmamk_f32 v5, v6, 0x3f5db3d7, v1
	v_fmac_f32_e32 v1, 0xbf5db3d7, v6
	ds_store_2addr_b64 v44, v[2:3], v[4:5] offset1:75
	ds_store_b64 v44, v[0:1] offset:1200
	global_wb scope:SCOPE_SE
	s_wait_dscnt 0x0
	s_barrier_signal -1
	s_barrier_wait -1
	global_inv scope:SCOPE_SE
	ds_load_2addr_b64 v[0:3], v40 offset1:225
	ds_load_b64 v[4:5], v40 offset:3600
	s_wait_dscnt 0x0
	v_dual_mul_f32 v8, v17, v2 :: v_dual_mul_f32 v7, v19, v5
	v_dual_mul_f32 v6, v17, v3 :: v_dual_mul_f32 v9, v19, v4
	s_delay_alu instid0(VALU_DEP_1) | instskip(NEXT) | instid1(VALU_DEP_3)
	v_dual_fmac_f32 v7, v18, v4 :: v_dual_fmac_f32 v6, v16, v2
	v_fma_f32 v2, v16, v3, -v8
	s_delay_alu instid0(VALU_DEP_3) | instskip(NEXT) | instid1(VALU_DEP_2)
	v_fma_f32 v3, v18, v5, -v9
	v_add_f32_e32 v10, v1, v2
	s_delay_alu instid0(VALU_DEP_2) | instskip(SKIP_1) | instid1(VALU_DEP_3)
	v_add_f32_e32 v8, v2, v3
	v_sub_f32_e32 v9, v2, v3
	v_add_f32_e32 v3, v10, v3
	v_dual_add_f32 v4, v6, v7 :: v_dual_add_f32 v5, v0, v6
	v_sub_f32_e32 v6, v6, v7
	v_fma_f32 v1, -0.5, v8, v1
	s_delay_alu instid0(VALU_DEP_3) | instskip(NEXT) | instid1(VALU_DEP_2)
	v_fma_f32 v0, -0.5, v4, v0
	v_dual_add_f32 v2, v5, v7 :: v_dual_fmamk_f32 v5, v6, 0x3f5db3d7, v1
	s_delay_alu instid0(VALU_DEP_2)
	v_dual_fmac_f32 v1, 0xbf5db3d7, v6 :: v_dual_fmamk_f32 v4, v9, 0xbf5db3d7, v0
	v_fmac_f32_e32 v0, 0x3f5db3d7, v9
	ds_store_2addr_b64 v40, v[2:3], v[4:5] offset1:225
	ds_store_b64 v40, v[0:1] offset:3600
	global_wb scope:SCOPE_SE
	s_wait_dscnt 0x0
	s_barrier_signal -1
	s_barrier_wait -1
	global_inv scope:SCOPE_SE
	s_and_b32 exec_lo, exec_lo, vcc_lo
	s_cbranch_execz .LBB0_23
; %bb.22:
	s_clause 0x4
	global_load_b64 v[8:9], v40, s[8:9]
	global_load_b64 v[10:11], v40, s[8:9] offset:1080
	global_load_b64 v[12:13], v40, s[8:9] offset:2160
	;; [unrolled: 1-line block ×4, first 2 shown]
	ds_load_b64 v[18:19], v40
	v_add_nc_u32_e32 v0, 0x400, v40
	v_add_nc_u32_e32 v4, 0xc00, v40
	s_mov_b32 s6, 0xa0ce5129
	s_mov_b32 s7, 0x3f5845c8
	s_wait_loadcnt_dscnt 0x400
	v_mul_f32_e32 v20, v19, v9
	v_mul_f32_e32 v9, v18, v9
	ds_load_2addr_b64 v[0:3], v0 offset0:7 offset1:142
	ds_load_2addr_b64 v[4:7], v4 offset0:21 offset1:156
	s_wait_loadcnt_dscnt 0x301
	v_mul_f32_e32 v21, v1, v11
	s_wait_loadcnt 0x2
	v_dual_mul_f32 v11, v0, v11 :: v_dual_mul_f32 v22, v3, v13
	s_wait_loadcnt_dscnt 0x100
	v_mul_f32_e32 v23, v5, v15
	v_mul_f32_e32 v13, v2, v13
	s_wait_loadcnt 0x0
	v_dual_mul_f32 v15, v4, v15 :: v_dual_mul_f32 v24, v7, v17
	v_mul_f32_e32 v17, v6, v17
	v_dual_fmac_f32 v20, v18, v8 :: v_dual_fmac_f32 v21, v0, v10
	v_fma_f32 v8, v8, v19, -v9
	v_fma_f32 v9, v10, v1, -v11
	v_dual_fmac_f32 v22, v2, v12 :: v_dual_fmac_f32 v23, v4, v14
	v_fma_f32 v10, v12, v3, -v13
	v_fma_f32 v14, v14, v5, -v15
	v_fmac_f32_e32 v24, v6, v16
	v_fma_f32 v18, v16, v7, -v17
	v_cvt_f64_f32_e32 v[0:1], v20
	v_cvt_f64_f32_e32 v[2:3], v8
	;; [unrolled: 1-line block ×10, first 2 shown]
	v_mad_co_u64_u32 v[20:21], null, s2, v36, 0
	v_mad_co_u64_u32 v[22:23], null, s0, v39, 0
	s_delay_alu instid0(VALU_DEP_1) | instskip(NEXT) | instid1(VALU_DEP_1)
	v_mad_co_u64_u32 v[24:25], null, s3, v36, v[21:22]
	v_mad_co_u64_u32 v[25:26], null, s1, v39, v[23:24]
	v_mov_b32_e32 v21, v24
	s_mul_u64 s[0:1], s[0:1], 0x438
	s_delay_alu instid0(VALU_DEP_2)
	v_mov_b32_e32 v23, v25
	s_wait_alu 0xfffe
	v_mul_f64_e32 v[0:1], s[6:7], v[0:1]
	v_mul_f64_e32 v[2:3], s[6:7], v[2:3]
	;; [unrolled: 1-line block ×10, first 2 shown]
	v_cvt_f32_f64_e32 v0, v[0:1]
	v_cvt_f32_f64_e32 v1, v[2:3]
	;; [unrolled: 1-line block ×10, first 2 shown]
	v_lshlrev_b64_e32 v[10:11], 3, v[20:21]
	v_lshlrev_b64_e32 v[12:13], 3, v[22:23]
	s_delay_alu instid0(VALU_DEP_2) | instskip(NEXT) | instid1(VALU_DEP_3)
	v_add_co_u32 v10, vcc_lo, s4, v10
	v_add_co_ci_u32_e32 v11, vcc_lo, s5, v11, vcc_lo
	s_delay_alu instid0(VALU_DEP_2) | instskip(SKIP_1) | instid1(VALU_DEP_2)
	v_add_co_u32 v10, vcc_lo, v10, v12
	s_wait_alu 0xfffd
	v_add_co_ci_u32_e32 v11, vcc_lo, v11, v13, vcc_lo
	s_delay_alu instid0(VALU_DEP_2) | instskip(SKIP_1) | instid1(VALU_DEP_2)
	v_add_co_u32 v12, vcc_lo, v10, s0
	s_wait_alu 0xfffd
	;; [unrolled: 4-line block ×5, first 2 shown]
	v_add_co_ci_u32_e32 v19, vcc_lo, s1, v17, vcc_lo
	s_clause 0x4
	global_store_b64 v[10:11], v[0:1], off
	global_store_b64 v[12:13], v[2:3], off
	;; [unrolled: 1-line block ×5, first 2 shown]
.LBB0_23:
	s_nop 0
	s_sendmsg sendmsg(MSG_DEALLOC_VGPRS)
	s_endpgm
	.section	.rodata,"a",@progbits
	.p2align	6, 0x0
	.amdhsa_kernel bluestein_single_back_len675_dim1_sp_op_CI_CI
		.amdhsa_group_segment_fixed_size 5400
		.amdhsa_private_segment_fixed_size 0
		.amdhsa_kernarg_size 104
		.amdhsa_user_sgpr_count 2
		.amdhsa_user_sgpr_dispatch_ptr 0
		.amdhsa_user_sgpr_queue_ptr 0
		.amdhsa_user_sgpr_kernarg_segment_ptr 1
		.amdhsa_user_sgpr_dispatch_id 0
		.amdhsa_user_sgpr_private_segment_size 0
		.amdhsa_wavefront_size32 1
		.amdhsa_uses_dynamic_stack 0
		.amdhsa_enable_private_segment 0
		.amdhsa_system_sgpr_workgroup_id_x 1
		.amdhsa_system_sgpr_workgroup_id_y 0
		.amdhsa_system_sgpr_workgroup_id_z 0
		.amdhsa_system_sgpr_workgroup_info 0
		.amdhsa_system_vgpr_workitem_id 0
		.amdhsa_next_free_vgpr 61
		.amdhsa_next_free_sgpr 16
		.amdhsa_reserve_vcc 1
		.amdhsa_float_round_mode_32 0
		.amdhsa_float_round_mode_16_64 0
		.amdhsa_float_denorm_mode_32 3
		.amdhsa_float_denorm_mode_16_64 3
		.amdhsa_fp16_overflow 0
		.amdhsa_workgroup_processor_mode 1
		.amdhsa_memory_ordered 1
		.amdhsa_forward_progress 0
		.amdhsa_round_robin_scheduling 0
		.amdhsa_exception_fp_ieee_invalid_op 0
		.amdhsa_exception_fp_denorm_src 0
		.amdhsa_exception_fp_ieee_div_zero 0
		.amdhsa_exception_fp_ieee_overflow 0
		.amdhsa_exception_fp_ieee_underflow 0
		.amdhsa_exception_fp_ieee_inexact 0
		.amdhsa_exception_int_div_zero 0
	.end_amdhsa_kernel
	.text
.Lfunc_end0:
	.size	bluestein_single_back_len675_dim1_sp_op_CI_CI, .Lfunc_end0-bluestein_single_back_len675_dim1_sp_op_CI_CI
                                        ; -- End function
	.section	.AMDGPU.csdata,"",@progbits
; Kernel info:
; codeLenInByte = 5756
; NumSgprs: 18
; NumVgprs: 61
; ScratchSize: 0
; MemoryBound: 0
; FloatMode: 240
; IeeeMode: 1
; LDSByteSize: 5400 bytes/workgroup (compile time only)
; SGPRBlocks: 2
; VGPRBlocks: 7
; NumSGPRsForWavesPerEU: 18
; NumVGPRsForWavesPerEU: 61
; Occupancy: 16
; WaveLimiterHint : 1
; COMPUTE_PGM_RSRC2:SCRATCH_EN: 0
; COMPUTE_PGM_RSRC2:USER_SGPR: 2
; COMPUTE_PGM_RSRC2:TRAP_HANDLER: 0
; COMPUTE_PGM_RSRC2:TGID_X_EN: 1
; COMPUTE_PGM_RSRC2:TGID_Y_EN: 0
; COMPUTE_PGM_RSRC2:TGID_Z_EN: 0
; COMPUTE_PGM_RSRC2:TIDIG_COMP_CNT: 0
	.text
	.p2alignl 7, 3214868480
	.fill 96, 4, 3214868480
	.type	__hip_cuid_5e5b479be37848e7,@object ; @__hip_cuid_5e5b479be37848e7
	.section	.bss,"aw",@nobits
	.globl	__hip_cuid_5e5b479be37848e7
__hip_cuid_5e5b479be37848e7:
	.byte	0                               ; 0x0
	.size	__hip_cuid_5e5b479be37848e7, 1

	.ident	"AMD clang version 19.0.0git (https://github.com/RadeonOpenCompute/llvm-project roc-6.4.0 25133 c7fe45cf4b819c5991fe208aaa96edf142730f1d)"
	.section	".note.GNU-stack","",@progbits
	.addrsig
	.addrsig_sym __hip_cuid_5e5b479be37848e7
	.amdgpu_metadata
---
amdhsa.kernels:
  - .args:
      - .actual_access:  read_only
        .address_space:  global
        .offset:         0
        .size:           8
        .value_kind:     global_buffer
      - .actual_access:  read_only
        .address_space:  global
        .offset:         8
        .size:           8
        .value_kind:     global_buffer
      - .actual_access:  read_only
        .address_space:  global
        .offset:         16
        .size:           8
        .value_kind:     global_buffer
      - .actual_access:  read_only
        .address_space:  global
        .offset:         24
        .size:           8
        .value_kind:     global_buffer
      - .actual_access:  read_only
        .address_space:  global
        .offset:         32
        .size:           8
        .value_kind:     global_buffer
      - .offset:         40
        .size:           8
        .value_kind:     by_value
      - .address_space:  global
        .offset:         48
        .size:           8
        .value_kind:     global_buffer
      - .address_space:  global
        .offset:         56
        .size:           8
        .value_kind:     global_buffer
      - .address_space:  global
        .offset:         64
        .size:           8
        .value_kind:     global_buffer
      - .address_space:  global
        .offset:         72
        .size:           8
        .value_kind:     global_buffer
      - .offset:         80
        .size:           4
        .value_kind:     by_value
      - .address_space:  global
        .offset:         88
        .size:           8
        .value_kind:     global_buffer
      - .address_space:  global
        .offset:         96
        .size:           8
        .value_kind:     global_buffer
    .group_segment_fixed_size: 5400
    .kernarg_segment_align: 8
    .kernarg_segment_size: 104
    .language:       OpenCL C
    .language_version:
      - 2
      - 0
    .max_flat_workgroup_size: 225
    .name:           bluestein_single_back_len675_dim1_sp_op_CI_CI
    .private_segment_fixed_size: 0
    .sgpr_count:     18
    .sgpr_spill_count: 0
    .symbol:         bluestein_single_back_len675_dim1_sp_op_CI_CI.kd
    .uniform_work_group_size: 1
    .uses_dynamic_stack: false
    .vgpr_count:     61
    .vgpr_spill_count: 0
    .wavefront_size: 32
    .workgroup_processor_mode: 1
amdhsa.target:   amdgcn-amd-amdhsa--gfx1201
amdhsa.version:
  - 1
  - 2
...

	.end_amdgpu_metadata
